;; amdgpu-corpus repo=zjin-lcf/HeCBench kind=compiled arch=gfx906 opt=O3
	.amdgcn_target "amdgcn-amd-amdhsa--gfx906"
	.amdhsa_code_object_version 6
	.text
	.protected	_Z9FSMKerneliPKtPiPjPhS3_S1_S1_S1_ ; -- Begin function _Z9FSMKerneliPKtPiPjPhS3_S1_S1_S1_
	.globl	_Z9FSMKerneliPKtPiPjPhS3_S1_S1_S1_
	.p2align	8
	.type	_Z9FSMKerneliPKtPiPjPhS3_S1_S1_S1_,@function
_Z9FSMKerneliPKtPiPjPhS3_S1_S1_S1_:     ; @_Z9FSMKerneliPKtPiPjPhS3_S1_S1_S1_
; %bb.0:
	s_load_dwordx8 s[20:27], s[4:5], 0x8
	s_load_dwordx8 s[8:15], s[4:5], 0x28
	s_add_u32 s0, s0, s7
	s_mov_b32 s19, 0
	s_addc_u32 s1, s1, 0
	v_cmp_eq_u32_e64 s[16:17], 0, v0
	s_mov_b32 s7, s19
	s_and_saveexec_b64 s[28:29], s[16:17]
	s_cbranch_execz .LBB0_2
; %bb.1:
	s_waitcnt lgkmcnt(0)
	s_add_u32 s30, s8, s6
	s_addc_u32 s31, s9, 0
	s_lshl_b64 s[34:35], s[6:7], 2
	s_add_u32 s34, s14, s34
	s_addc_u32 s35, s15, s35
	v_mov_b32_e32 v1, 0
	global_store_dword v1, v1, s[34:35]
	global_store_byte v1, v1, s[30:31]
.LBB0_2:
	s_or_b64 exec, exec, s[28:29]
	s_waitcnt vmcnt(0) lgkmcnt(0)
	s_barrier
	s_load_dword s18, s[4:5], 0x54
	s_load_dword s33, s[4:5], 0x0
	s_mov_b32 s44, 0x1984a2d
	v_mov_b32_e32 v6, s25
	v_mov_b32_e32 v8, 7
	s_waitcnt lgkmcnt(0)
	s_and_b32 s4, s18, 0xffff
	s_mul_i32 s4, s6, s4
	v_add_u32_e32 v1, s4, v0
	v_xor_b32_e32 v3, 0x4d2, v1
	v_ashrrev_i32_e32 v2, 31, v1
	v_mad_u64_u32 v[3:4], s[4:5], v3, s44, 1
	v_lshlrev_b64 v[1:2], 2, v[1:2]
	s_movk_i32 s4, 0x7e9
	v_add_co_u32_e32 v5, vcc, s24, v1
	v_addc_co_u32_e32 v6, vcc, v6, v2, vcc
	v_mad_legacy_u16 v2, v3, 45, 1
	v_and_b32_e32 v4, 7, v2
	v_mad_legacy_u16 v2, v3, s4, 46
	s_movk_i32 s4, 0x63f5
	v_and_b32_sdwa v9, v2, v8 dst_sel:BYTE_1 dst_unused:UNUSED_PAD src0_sel:DWORD src1_sel:DWORD
	v_mad_legacy_u16 v2, v3, s4, -1
	v_and_b32_e32 v10, 7, v2
	s_movk_i32 s4, 0x9211
	v_mov_b32_e32 v2, 0x6c0c
	v_mad_legacy_u16 v2, v3, s4, v2
	v_and_b32_sdwa v11, v2, v8 dst_sel:BYTE_1 dst_unused:UNUSED_PAD src0_sel:DWORD src1_sel:DWORD
	s_movk_i32 s4, 0xacfd
	v_mov_b32_e32 v2, 0xfffffe1d
	v_mad_legacy_u16 v2, v3, s4, v2
	s_movk_i32 s4, 0x6879
	v_mov_b32_e32 v12, 0xffffab1a
	v_mad_legacy_u16 v12, v3, s4, v12
	;; [unrolled: 3-line block ×6, first 2 shown]
	s_movk_i32 s4, 0x8b95
	v_mad_legacy_u16 v17, v3, s4, -1
	s_movk_i32 s4, 0x8931
	v_mov_b32_e32 v18, 0x1a64
	v_mad_legacy_u16 v18, v3, s4, v18
	s_movk_i32 s4, 0x1d9d
	v_mov_b32_e32 v19, 0xffffa395
	v_mad_legacy_u16 v19, v3, s4, v19
	s_movk_i32 s4, 0x3499
	v_mov_b32_e32 v20, 0xffffc132
	s_cmp_gt_i32 s33, 0
	v_and_b32_e32 v1, 0x7fffffff, v3
	v_mad_legacy_u16 v20, v3, s4, v20
	s_movk_i32 s4, 0x3ee5
	s_mov_b32 s5, 0x1c2e41
	v_mov_b32_e32 v21, 0xfffff5cb
	s_cselect_b64 s[38:39], -1, 0
	s_lshl_b64 s[30:31], s[6:7], 2
	v_mul_lo_u32 v1, v1, s5
	v_mad_legacy_u16 v3, v3, s4, v21
	s_add_u32 s4, s10, s30
	s_addc_u32 s5, s11, s31
	s_add_u32 s24, s12, s30
	s_addc_u32 s25, s13, s31
	v_and_b32_e32 v15, 7, v15
	v_and_b32_sdwa v16, v16, v8 dst_sel:BYTE_1 dst_unused:UNUSED_PAD src0_sel:DWORD src1_sel:DWORD
	v_and_b32_e32 v17, 7, v17
	v_and_b32_sdwa v18, v18, v8 dst_sel:BYTE_1 dst_unused:UNUSED_PAD src0_sel:DWORD src1_sel:DWORD
	v_add_u32_e32 v1, 0xaf5464b0, v1
	s_add_u32 s28, s8, s6
	v_and_b32_e32 v2, 7, v2
	v_and_b32_sdwa v12, v12, v8 dst_sel:BYTE_1 dst_unused:UNUSED_PAD src0_sel:DWORD src1_sel:DWORD
	v_and_b32_e32 v13, 7, v13
	v_and_b32_sdwa v14, v14, v8 dst_sel:BYTE_1 dst_unused:UNUSED_PAD src0_sel:DWORD src1_sel:DWORD
	v_and_b32_sdwa v20, v20, v8 dst_sel:BYTE_1 dst_unused:UNUSED_PAD src0_sel:DWORD src1_sel:DWORD
	v_and_b32_e32 v21, 7, v3
	v_and_b32_e32 v22, 0x7fffffff, v1
	v_and_b32_sdwa v8, v1, v8 dst_sel:BYTE_1 dst_unused:UNUSED_PAD src0_sel:DWORD src1_sel:DWORD
	v_or_b32_e32 v1, v15, v16
	v_or_b32_sdwa v3, v17, v18 dst_sel:WORD_1 dst_unused:UNUSED_PAD src0_sel:DWORD src1_sel:DWORD
	s_addc_u32 s29, s9, 0
	v_or_b32_sdwa v3, v1, v3 dst_sel:DWORD dst_unused:UNUSED_PAD src0_sel:WORD_0 src1_sel:DWORD
	v_or_b32_e32 v1, v2, v12
	v_or_b32_sdwa v2, v13, v14 dst_sel:WORD_1 dst_unused:UNUSED_PAD src0_sel:DWORD src1_sel:DWORD
	s_add_u32 s30, s14, s30
	v_and_b32_e32 v19, 7, v19
	v_or_b32_sdwa v2, v1, v2 dst_sel:DWORD dst_unused:UNUSED_PAD src0_sel:WORD_0 src1_sel:DWORD
	v_or_b32_e32 v1, v4, v9
	v_or_b32_sdwa v4, v10, v11 dst_sel:WORD_1 dst_unused:UNUSED_PAD src0_sel:DWORD src1_sel:DWORD
	s_addc_u32 s31, s15, s31
	s_and_b32 s45, s33, 7
	v_or_b32_sdwa v1, v1, v4 dst_sel:DWORD dst_unused:UNUSED_PAD src0_sel:WORD_0 src1_sel:DWORD
	v_or_b32_e32 v4, v19, v20
	v_or_b32_sdwa v8, v21, v8 dst_sel:WORD_1 dst_unused:UNUSED_PAD src0_sel:DWORD src1_sel:DWORD
	s_cmp_gt_u32 s33, 7
	v_lshlrev_b32_e32 v7, 4, v0
	v_or_b32_sdwa v4, v4, v8 dst_sel:DWORD dst_unused:UNUSED_PAD src0_sel:WORD_0 src1_sel:DWORD
	s_cselect_b64 s[10:11], -1, 0
	s_and_b32 s46, s33, 0x7ffffff8
	ds_write_b128 v7, v[1:4]
	s_cmp_lg_u32 s45, 0
	v_cndmask_b32_e64 v1, 0, 1, s[38:39]
	s_cselect_b64 s[12:13], -1, 0
	v_cmp_ne_u32_e64 s[8:9], 1, v1
	v_cndmask_b32_e64 v1, 0, 1, s[10:11]
	s_add_u32 s34, s20, 14
	v_cmp_ne_u32_e64 s[10:11], 1, v1
	v_cndmask_b32_e64 v1, 0, 1, s[12:13]
	s_addc_u32 s35, s21, 0
	s_mov_b32 s18, 16
	s_mov_b64 s[36:37], 0x8000
	v_mov_b32_e32 v8, 0
	v_cmp_ne_u32_e64 s[12:13], 1, v1
	s_mov_b32 s47, 0x84ee0be9
	global_store_dword v[5:6], v22, off
	s_branch .LBB0_4
.LBB0_3:                                ;   in Loop: Header=BB0_4 Depth=1
	s_or_b64 exec, exec, s[38:39]
	global_load_ubyte v1, v8, s[28:29]
	s_mov_b64 s[36:37], 0x8000
	s_mov_b32 s18, 16
	global_store_dword v[5:6], v9, off
	s_waitcnt vmcnt(1)
	v_cmp_eq_u32_e32 vcc, 0, v1
	s_cbranch_vccz .LBB0_106
.LBB0_4:                                ; =>This Loop Header: Depth=1
                                        ;     Child Loop BB0_8 Depth 2
                                        ;     Child Loop BB0_13 Depth 2
	;; [unrolled: 1-line block ×5, first 2 shown]
	s_add_u32 s36, s36, -4
	v_mov_b32_e32 v1, s18
	s_addc_u32 s37, s37, -1
	s_add_i32 s18, s18, 4
	s_cmp_lg_u64 s[36:37], 0
	buffer_store_dword v8, v1, s[0:3], 0 offen
	s_cbranch_scc1 .LBB0_4
; %bb.5:                                ;   in Loop: Header=BB0_4 Depth=1
	s_and_b64 vcc, exec, s[8:9]
	s_cbranch_vccnz .LBB0_10
; %bb.6:                                ;   in Loop: Header=BB0_4 Depth=1
	s_and_b64 vcc, exec, s[10:11]
	s_cbranch_vccnz .LBB0_11
; %bb.7:                                ;   in Loop: Header=BB0_4 Depth=1
	s_mov_b32 s18, 0
	v_mov_b32_e32 v9, 0
	s_mov_b64 s[14:15], s[34:35]
.LBB0_8:                                ;   Parent Loop BB0_4 Depth=1
                                        ; =>  This Inner Loop Header: Depth=2
	global_load_dwordx4 v[1:4], v8, s[14:15] offset:-14
	s_add_i32 s18, s18, 8
	s_add_u32 s14, s14, 16
	s_addc_u32 s15, s15, 0
	s_cmp_eq_u32 s46, s18
	s_waitcnt vmcnt(0)
	v_bfe_u32 v10, v1, 1, 15
	v_add_u32_e32 v10, 16, v10
	buffer_load_ubyte v11, v10, s[0:3], 0 offen
	v_and_b32_e32 v12, 1, v1
	s_waitcnt vmcnt(0)
	v_lshlrev_b32_e32 v13, 1, v11
	v_add3_u32 v12, v7, v13, v12
	ds_read_u8 v12, v12
	v_lshrrev_b32_e32 v13, 17, v1
	v_add_u32_e32 v13, 16, v13
	v_xor_b32_e32 v11, v11, v1
	v_and_b32_e32 v11, 1, v11
	s_waitcnt lgkmcnt(0)
	buffer_store_byte v12, v10, s[0:3], 0 offen
	buffer_load_ubyte v10, v13, s[0:3], 0 offen
	v_bfe_u32 v12, v1, 16, 1
	s_waitcnt vmcnt(0)
	v_lshlrev_b32_e32 v14, 1, v10
	v_add3_u32 v12, v7, v14, v12
	ds_read_u8 v12, v12
	v_bfe_u32 v14, v2, 1, 15
	v_add_u32_e32 v14, 16, v14
	v_xor_b32_sdwa v1, v10, v1 dst_sel:DWORD dst_unused:UNUSED_PAD src0_sel:DWORD src1_sel:WORD_1
	v_and_b32_e32 v1, 1, v1
	s_waitcnt lgkmcnt(0)
	buffer_store_byte v12, v13, s[0:3], 0 offen
	buffer_load_ubyte v12, v14, s[0:3], 0 offen
	v_and_b32_e32 v13, 1, v2
	v_add3_u32 v1, v11, v9, v1
	s_waitcnt vmcnt(0)
	v_lshlrev_b32_e32 v15, 1, v12
	v_add3_u32 v13, v7, v15, v13
	ds_read_u8 v13, v13
	v_lshrrev_b32_e32 v15, 17, v2
	v_add_u32_e32 v15, 16, v15
	v_xor_b32_e32 v9, v12, v2
	v_and_b32_e32 v9, 1, v9
	s_waitcnt lgkmcnt(0)
	buffer_store_byte v13, v14, s[0:3], 0 offen
	buffer_load_ubyte v13, v15, s[0:3], 0 offen
	v_bfe_u32 v14, v2, 16, 1
	s_waitcnt vmcnt(0)
	v_lshlrev_b32_e32 v16, 1, v13
	v_add3_u32 v14, v7, v16, v14
	ds_read_u8 v14, v14
	v_bfe_u32 v16, v3, 1, 15
	v_add_u32_e32 v16, 16, v16
	v_xor_b32_sdwa v2, v13, v2 dst_sel:DWORD dst_unused:UNUSED_PAD src0_sel:DWORD src1_sel:WORD_1
	v_and_b32_e32 v2, 1, v2
	s_waitcnt lgkmcnt(0)
	buffer_store_byte v14, v15, s[0:3], 0 offen
	buffer_load_ubyte v14, v16, s[0:3], 0 offen
	v_and_b32_e32 v15, 1, v3
	v_add3_u32 v1, v9, v1, v2
	;; [unrolled: 25-line block ×3, first 2 shown]
	s_waitcnt vmcnt(0)
	v_lshlrev_b32_e32 v19, 1, v16
	v_add3_u32 v17, v7, v19, v17
	ds_read_u8 v17, v17
	v_lshrrev_b32_e32 v19, 17, v4
	v_add_u32_e32 v19, 16, v19
	v_xor_b32_e32 v2, v16, v4
	v_and_b32_e32 v2, 1, v2
	s_waitcnt lgkmcnt(0)
	buffer_store_byte v17, v18, s[0:3], 0 offen
	buffer_load_ubyte v17, v19, s[0:3], 0 offen
	v_bfe_u32 v18, v4, 16, 1
	s_waitcnt vmcnt(0)
	v_lshlrev_b32_e32 v3, 1, v17
	v_add3_u32 v3, v7, v3, v18
	ds_read_u8 v3, v3
	v_xor_b32_sdwa v4, v17, v4 dst_sel:DWORD dst_unused:UNUSED_PAD src0_sel:DWORD src1_sel:WORD_1
	v_and_b32_e32 v4, 1, v4
	v_add3_u32 v9, v2, v1, v4
	s_waitcnt lgkmcnt(0)
	buffer_store_byte v3, v19, s[0:3], 0 offen
	s_cbranch_scc0 .LBB0_8
; %bb.9:                                ;   in Loop: Header=BB0_4 Depth=1
	s_mov_b32 s14, s46
	s_and_b64 vcc, exec, s[12:13]
	s_cbranch_vccz .LBB0_12
	s_branch .LBB0_14
.LBB0_10:                               ;   in Loop: Header=BB0_4 Depth=1
	s_mov_b32 s18, 0
	v_mov_b32_e32 v9, 0
	s_cmp_ge_i32 s18, s33
	s_cbranch_scc0 .LBB0_15
	s_branch .LBB0_17
.LBB0_11:                               ;   in Loop: Header=BB0_4 Depth=1
	v_mov_b32_e32 v9, 0
	s_mov_b32 s14, 0
	s_and_b64 vcc, exec, s[12:13]
	s_cbranch_vccnz .LBB0_14
.LBB0_12:                               ;   in Loop: Header=BB0_4 Depth=1
	s_lshl_b32 s14, s14, 1
	s_add_u32 s14, s20, s14
	s_addc_u32 s15, s21, 0
	s_mov_b32 s18, s45
.LBB0_13:                               ;   Parent Loop BB0_4 Depth=1
                                        ; =>  This Inner Loop Header: Depth=2
	global_load_ushort v1, v8, s[14:15]
	s_add_u32 s14, s14, 2
	s_addc_u32 s15, s15, 0
	s_add_i32 s18, s18, -1
	s_cmp_lg_u32 s18, 0
	s_waitcnt vmcnt(0)
	v_lshrrev_b32_e32 v2, 1, v1
	v_add_u32_e32 v2, 16, v2
	buffer_load_ubyte v3, v2, s[0:3], 0 offen
	v_and_b32_e32 v4, 1, v1
	s_waitcnt vmcnt(0)
	v_lshlrev_b32_e32 v10, 1, v3
	v_add3_u32 v4, v7, v10, v4
	ds_read_u8 v4, v4
	v_xor_b32_e32 v1, v3, v1
	v_and_b32_e32 v1, 1, v1
	v_add_u32_e32 v9, v1, v9
	s_waitcnt lgkmcnt(0)
	buffer_store_byte v4, v2, s[0:3], 0 offen
	s_cbranch_scc1 .LBB0_13
.LBB0_14:                               ;   in Loop: Header=BB0_4 Depth=1
	s_mov_b32 s18, s33
	s_cmp_ge_i32 s18, s33
	s_cbranch_scc1 .LBB0_17
.LBB0_15:                               ;   in Loop: Header=BB0_4 Depth=1
	s_lshl_b64 s[14:15], s[18:19], 1
	s_add_u32 s14, s20, s14
	s_addc_u32 s15, s21, s15
.LBB0_16:                               ;   Parent Loop BB0_4 Depth=1
                                        ; =>  This Inner Loop Header: Depth=2
	global_load_ushort v1, v8, s[14:15]
	s_add_i32 s18, s18, 1
	s_add_u32 s14, s14, 2
	s_addc_u32 s15, s15, 0
	s_cmp_lt_i32 s18, s33
	s_waitcnt vmcnt(0)
	v_lshrrev_b32_e32 v2, 1, v1
	v_add_u32_e32 v2, 16, v2
	buffer_load_ubyte v3, v2, s[0:3], 0 offen
	v_and_b32_e32 v4, 1, v1
	s_waitcnt vmcnt(0)
	v_lshlrev_b32_e32 v10, 1, v3
	v_add3_u32 v4, v7, v10, v4
	ds_read_u8 v4, v4
	v_xor_b32_e32 v1, v3, v1
	v_and_b32_e32 v1, 1, v1
	v_add_u32_e32 v9, v1, v9
	s_waitcnt lgkmcnt(0)
	buffer_store_byte v4, v2, s[0:3], 0 offen
	s_cbranch_scc1 .LBB0_16
.LBB0_17:                               ;   in Loop: Header=BB0_4 Depth=1
	s_and_saveexec_b64 s[14:15], s[16:17]
	s_cbranch_execz .LBB0_21
; %bb.18:                               ;   in Loop: Header=BB0_4 Depth=1
	s_mov_b64 s[38:39], exec
	v_mbcnt_lo_u32_b32 v1, s38, 0
	v_mbcnt_hi_u32_b32 v1, s39, v1
	v_cmp_eq_u32_e32 vcc, 0, v1
	s_and_saveexec_b64 s[36:37], vcc
	s_cbranch_execz .LBB0_20
; %bb.19:                               ;   in Loop: Header=BB0_4 Depth=1
	s_bcnt1_i32_b64 s18, s[38:39]
	v_mov_b32_e32 v1, s18
	global_atomic_add v8, v1, s[22:23] offset:8
.LBB0_20:                               ;   in Loop: Header=BB0_4 Depth=1
	s_or_b64 exec, exec, s[36:37]
	global_store_dword v8, v8, s[4:5]
	global_store_dword v8, v8, s[24:25]
.LBB0_21:                               ;   in Loop: Header=BB0_4 Depth=1
	s_or_b64 exec, exec, s[14:15]
	s_mov_b64 s[14:15], exec
	v_sub_u32_e32 v3, s33, v9
	s_brev_b32 s18, 1
	s_waitcnt vmcnt(0) lgkmcnt(0)
	s_barrier
.LBB0_22:                               ;   Parent Loop BB0_4 Depth=1
                                        ; =>  This Inner Loop Header: Depth=2
	s_ff1_i32_b64 s36, s[14:15]
	v_readlane_b32 s38, v3, s36
	s_lshl_b64 s[36:37], 1, s36
	s_max_i32 s18, s18, s38
	s_andn2_b64 s[14:15], s[14:15], s[36:37]
	s_cmp_lg_u64 s[14:15], 0
	s_cbranch_scc1 .LBB0_22
; %bb.23:                               ;   in Loop: Header=BB0_4 Depth=1
	v_mbcnt_lo_u32_b32 v1, exec_lo, 0
	v_mbcnt_hi_u32_b32 v1, exec_hi, v1
	v_cmp_eq_u32_e32 vcc, 0, v1
	s_and_saveexec_b64 s[14:15], vcc
	s_xor_b64 s[14:15], exec, s[14:15]
	s_cbranch_execz .LBB0_25
; %bb.24:                               ;   in Loop: Header=BB0_4 Depth=1
	v_mov_b32_e32 v1, s18
	global_atomic_smax v8, v1, s[4:5]
.LBB0_25:                               ;   in Loop: Header=BB0_4 Depth=1
	s_or_b64 exec, exec, s[14:15]
	s_waitcnt vmcnt(0)
	s_barrier
	global_load_dword v1, v8, s[4:5]
	s_waitcnt vmcnt(0)
	v_cmp_eq_u32_e32 vcc, v3, v1
	s_and_saveexec_b64 s[14:15], vcc
	s_cbranch_execz .LBB0_30
; %bb.26:                               ;   in Loop: Header=BB0_4 Depth=1
	s_mov_b64 s[36:37], exec
	s_brev_b32 s18, 1
.LBB0_27:                               ;   Parent Loop BB0_4 Depth=1
                                        ; =>  This Inner Loop Header: Depth=2
	s_ff1_i32_b64 s38, s[36:37]
	v_readlane_b32 s40, v0, s38
	s_lshl_b64 s[38:39], 1, s38
	s_max_i32 s18, s18, s40
	s_andn2_b64 s[36:37], s[36:37], s[38:39]
	s_cmp_lg_u64 s[36:37], 0
	s_cbranch_scc1 .LBB0_27
; %bb.28:                               ;   in Loop: Header=BB0_4 Depth=1
	v_mbcnt_lo_u32_b32 v1, exec_lo, 0
	v_mbcnt_hi_u32_b32 v1, exec_hi, v1
	v_cmp_eq_u32_e32 vcc, 0, v1
	s_and_saveexec_b64 s[36:37], vcc
	s_xor_b64 s[36:37], exec, s[36:37]
	s_cbranch_execz .LBB0_30
; %bb.29:                               ;   in Loop: Header=BB0_4 Depth=1
	v_mov_b32_e32 v1, s18
	global_atomic_smax v8, v1, s[24:25]
.LBB0_30:                               ;   in Loop: Header=BB0_4 Depth=1
	s_or_b64 exec, exec, s[14:15]
	s_waitcnt vmcnt(0)
	s_barrier
	global_load_dword v1, v8, s[24:25]
                                        ; implicit-def: $sgpr14_sgpr15
	s_waitcnt vmcnt(0)
	v_cmp_ne_u32_e32 vcc, v1, v0
	s_and_saveexec_b64 s[36:37], vcc
	s_xor_b64 s[36:37], exec, s[36:37]
	s_cbranch_execz .LBB0_32
; %bb.31:                               ;   in Loop: Header=BB0_4 Depth=1
	global_load_dword v1, v[5:6], off
	s_waitcnt vmcnt(0)
	v_mad_u64_u32 v[1:2], s[14:15], v1, s44, 1
	v_and_b32_e32 v2, 0x7fffffff, v1
	v_and_b32_e32 v1, 7, v1
	global_store_dword v[5:6], v2, off
	v_cmp_ne_u32_e64 s[14:15], 0, v1
.LBB0_32:                               ;   in Loop: Header=BB0_4 Depth=1
	s_andn2_saveexec_b64 s[36:37], s[36:37]
	s_cbranch_execz .LBB0_36
; %bb.33:                               ;   in Loop: Header=BB0_4 Depth=1
	global_load_ubyte v2, v8, s[28:29]
	global_load_dword v4, v8, s[30:31]
	global_load_dword v1, v8, s[4:5]
	s_waitcnt vmcnt(2)
	v_add_u32_e32 v2, 1, v2
	global_store_byte v8, v2, s[28:29]
	s_waitcnt vmcnt(1)
	v_cmp_ge_i32_e32 vcc, v4, v1
	s_cbranch_vccnz .LBB0_35
; %bb.34:                               ;   in Loop: Header=BB0_4 Depth=1
	global_store_dword v8, v1, s[30:31]
	global_store_byte v8, v8, s[28:29]
.LBB0_35:                               ;   in Loop: Header=BB0_4 Depth=1
	s_or_b64 s[14:15], s[14:15], exec
.LBB0_36:                               ;   in Loop: Header=BB0_4 Depth=1
	s_or_b64 exec, exec, s[36:37]
	s_waitcnt vmcnt(0)
	s_barrier
	global_load_dword v4, v8, s[24:25]
	global_load_dword v1, v[5:6], off
	s_xor_b64 s[38:39], s[14:15], -1
                                        ; implicit-def: $vgpr10
	s_waitcnt vmcnt(1)
	v_cmp_eq_u32_e64 s[14:15], v0, v4
	s_waitcnt vmcnt(0)
	v_mul_lo_u32 v9, v1, s47
	v_mad_u64_u32 v[1:2], s[36:37], v1, s44, 1
	v_cmp_ne_u32_e32 vcc, v0, v4
	v_lshlrev_b32_e32 v4, 4, v4
	v_add_u32_e32 v11, 0x1984a2e, v9
	s_mov_b64 s[36:37], 0
                                        ; implicit-def: $vgpr9
	s_and_saveexec_b64 s[40:41], s[38:39]
	s_xor_b64 s[38:39], exec, s[40:41]
	s_cbranch_execnz .LBB0_39
; %bb.37:                               ;   in Loop: Header=BB0_4 Depth=1
	s_andn2_saveexec_b64 s[38:39], s[38:39]
	s_cbranch_execnz .LBB0_72
.LBB0_38:                               ;   in Loop: Header=BB0_4 Depth=1
	s_or_b64 exec, exec, s[38:39]
	s_and_saveexec_b64 s[38:39], s[36:37]
	s_cbranch_execz .LBB0_3
	s_branch .LBB0_105
.LBB0_39:                               ;   in Loop: Header=BB0_4 Depth=1
	s_and_saveexec_b64 s[36:37], vcc
	s_cbranch_execz .LBB0_41
; %bb.40:                               ;   in Loop: Header=BB0_4 Depth=1
	ds_read_u8 v2, v4
	v_and_b32_e32 v1, v11, v1
	s_waitcnt lgkmcnt(0)
	v_xor_b32_e32 v1, v2, v1
	v_and_b32_e32 v1, 7, v1
	ds_write_b8 v7, v1
.LBB0_41:                               ;   in Loop: Header=BB0_4 Depth=1
	s_or_b64 exec, exec, s[36:37]
	v_mul_lo_u32 v1, v11, s47
	v_add_u32_e32 v1, 0x1984a2e, v1
	s_and_saveexec_b64 s[36:37], vcc
	s_cbranch_execz .LBB0_43
; %bb.42:                               ;   in Loop: Header=BB0_4 Depth=1
	v_mad_u64_u32 v[9:10], s[40:41], v11, s44, 1
	ds_read_u8 v2, v4 offset:1
	v_and_b32_e32 v9, v1, v9
	s_waitcnt lgkmcnt(0)
	v_xor_b32_e32 v2, v2, v9
	v_and_b32_e32 v2, 7, v2
	ds_write_b8 v7, v2 offset:1
.LBB0_43:                               ;   in Loop: Header=BB0_4 Depth=1
	s_or_b64 exec, exec, s[36:37]
	v_mul_lo_u32 v2, v1, s47
	v_add_u32_e32 v2, 0x1984a2e, v2
	s_and_saveexec_b64 s[36:37], vcc
	s_cbranch_execz .LBB0_45
; %bb.44:                               ;   in Loop: Header=BB0_4 Depth=1
	v_mad_u64_u32 v[9:10], s[40:41], v1, s44, 1
	ds_read_u8 v1, v4 offset:2
	v_and_b32_e32 v9, v2, v9
	s_waitcnt lgkmcnt(0)
	v_xor_b32_e32 v1, v1, v9
	v_and_b32_e32 v1, 7, v1
	ds_write_b8 v7, v1 offset:2
.LBB0_45:                               ;   in Loop: Header=BB0_4 Depth=1
	s_or_b64 exec, exec, s[36:37]
	v_mul_lo_u32 v1, v2, s47
	v_add_u32_e32 v1, 0x1984a2e, v1
	s_and_saveexec_b64 s[36:37], vcc
	s_cbranch_execz .LBB0_47
; %bb.46:                               ;   in Loop: Header=BB0_4 Depth=1
	v_mad_u64_u32 v[9:10], s[40:41], v2, s44, 1
	ds_read_u8 v2, v4 offset:3
	v_and_b32_e32 v9, v1, v9
	s_waitcnt lgkmcnt(0)
	v_xor_b32_e32 v2, v2, v9
	v_and_b32_e32 v2, 7, v2
	ds_write_b8 v7, v2 offset:3
.LBB0_47:                               ;   in Loop: Header=BB0_4 Depth=1
	s_or_b64 exec, exec, s[36:37]
	v_mul_lo_u32 v2, v1, s47
	v_add_u32_e32 v2, 0x1984a2e, v2
	s_and_saveexec_b64 s[36:37], vcc
	s_cbranch_execz .LBB0_49
; %bb.48:                               ;   in Loop: Header=BB0_4 Depth=1
	v_mad_u64_u32 v[9:10], s[40:41], v1, s44, 1
	ds_read_u8 v1, v4 offset:4
	v_and_b32_e32 v9, v2, v9
	s_waitcnt lgkmcnt(0)
	v_xor_b32_e32 v1, v1, v9
	v_and_b32_e32 v1, 7, v1
	ds_write_b8 v7, v1 offset:4
.LBB0_49:                               ;   in Loop: Header=BB0_4 Depth=1
	s_or_b64 exec, exec, s[36:37]
	v_mul_lo_u32 v1, v2, s47
	v_add_u32_e32 v1, 0x1984a2e, v1
	s_and_saveexec_b64 s[36:37], vcc
	s_cbranch_execz .LBB0_51
; %bb.50:                               ;   in Loop: Header=BB0_4 Depth=1
	v_mad_u64_u32 v[9:10], s[40:41], v2, s44, 1
	ds_read_u8 v2, v4 offset:5
	v_and_b32_e32 v9, v1, v9
	s_waitcnt lgkmcnt(0)
	v_xor_b32_e32 v2, v2, v9
	v_and_b32_e32 v2, 7, v2
	ds_write_b8 v7, v2 offset:5
.LBB0_51:                               ;   in Loop: Header=BB0_4 Depth=1
	s_or_b64 exec, exec, s[36:37]
	v_mul_lo_u32 v2, v1, s47
	v_add_u32_e32 v2, 0x1984a2e, v2
	s_and_saveexec_b64 s[36:37], vcc
	s_cbranch_execz .LBB0_53
; %bb.52:                               ;   in Loop: Header=BB0_4 Depth=1
	v_mad_u64_u32 v[9:10], s[40:41], v1, s44, 1
	ds_read_u8 v1, v4 offset:6
	v_and_b32_e32 v9, v2, v9
	s_waitcnt lgkmcnt(0)
	v_xor_b32_e32 v1, v1, v9
	v_and_b32_e32 v1, 7, v1
	ds_write_b8 v7, v1 offset:6
.LBB0_53:                               ;   in Loop: Header=BB0_4 Depth=1
	s_or_b64 exec, exec, s[36:37]
	v_mul_lo_u32 v1, v2, s47
	v_add_u32_e32 v1, 0x1984a2e, v1
	s_and_saveexec_b64 s[36:37], vcc
	s_cbranch_execz .LBB0_55
; %bb.54:                               ;   in Loop: Header=BB0_4 Depth=1
	v_mad_u64_u32 v[9:10], s[40:41], v2, s44, 1
	ds_read_u8 v2, v4 offset:7
	v_and_b32_e32 v9, v1, v9
	s_waitcnt lgkmcnt(0)
	v_xor_b32_e32 v2, v2, v9
	v_and_b32_e32 v2, 7, v2
	ds_write_b8 v7, v2 offset:7
.LBB0_55:                               ;   in Loop: Header=BB0_4 Depth=1
	s_or_b64 exec, exec, s[36:37]
	v_mul_lo_u32 v2, v1, s47
	v_add_u32_e32 v2, 0x1984a2e, v2
	s_and_saveexec_b64 s[36:37], vcc
	s_cbranch_execz .LBB0_57
; %bb.56:                               ;   in Loop: Header=BB0_4 Depth=1
	v_mad_u64_u32 v[9:10], s[40:41], v1, s44, 1
	ds_read_u8 v1, v4 offset:8
	v_and_b32_e32 v9, v2, v9
	s_waitcnt lgkmcnt(0)
	v_xor_b32_e32 v1, v1, v9
	v_and_b32_e32 v1, 7, v1
	ds_write_b8 v7, v1 offset:8
.LBB0_57:                               ;   in Loop: Header=BB0_4 Depth=1
	s_or_b64 exec, exec, s[36:37]
	v_mul_lo_u32 v1, v2, s47
	v_add_u32_e32 v1, 0x1984a2e, v1
	s_and_saveexec_b64 s[36:37], vcc
	s_cbranch_execz .LBB0_59
; %bb.58:                               ;   in Loop: Header=BB0_4 Depth=1
	v_mad_u64_u32 v[9:10], s[40:41], v2, s44, 1
	ds_read_u8 v2, v4 offset:9
	v_and_b32_e32 v9, v1, v9
	s_waitcnt lgkmcnt(0)
	v_xor_b32_e32 v2, v2, v9
	v_and_b32_e32 v2, 7, v2
	ds_write_b8 v7, v2 offset:9
.LBB0_59:                               ;   in Loop: Header=BB0_4 Depth=1
	s_or_b64 exec, exec, s[36:37]
	v_mul_lo_u32 v2, v1, s47
	v_add_u32_e32 v2, 0x1984a2e, v2
	s_and_saveexec_b64 s[36:37], vcc
	s_cbranch_execz .LBB0_61
; %bb.60:                               ;   in Loop: Header=BB0_4 Depth=1
	v_mad_u64_u32 v[9:10], s[40:41], v1, s44, 1
	ds_read_u8 v1, v4 offset:10
	v_and_b32_e32 v9, v2, v9
	s_waitcnt lgkmcnt(0)
	v_xor_b32_e32 v1, v1, v9
	v_and_b32_e32 v1, 7, v1
	ds_write_b8 v7, v1 offset:10
.LBB0_61:                               ;   in Loop: Header=BB0_4 Depth=1
	s_or_b64 exec, exec, s[36:37]
	v_mul_lo_u32 v1, v2, s47
	v_add_u32_e32 v1, 0x1984a2e, v1
	s_and_saveexec_b64 s[36:37], vcc
	s_cbranch_execz .LBB0_63
; %bb.62:                               ;   in Loop: Header=BB0_4 Depth=1
	v_mad_u64_u32 v[9:10], s[40:41], v2, s44, 1
	ds_read_u8 v2, v4 offset:11
	v_and_b32_e32 v9, v1, v9
	s_waitcnt lgkmcnt(0)
	v_xor_b32_e32 v2, v2, v9
	v_and_b32_e32 v2, 7, v2
	ds_write_b8 v7, v2 offset:11
.LBB0_63:                               ;   in Loop: Header=BB0_4 Depth=1
	s_or_b64 exec, exec, s[36:37]
	v_mul_lo_u32 v2, v1, s47
	v_add_u32_e32 v2, 0x1984a2e, v2
	s_and_saveexec_b64 s[36:37], vcc
	s_cbranch_execz .LBB0_65
; %bb.64:                               ;   in Loop: Header=BB0_4 Depth=1
	v_mad_u64_u32 v[9:10], s[40:41], v1, s44, 1
	ds_read_u8 v1, v4 offset:12
	v_and_b32_e32 v9, v2, v9
	s_waitcnt lgkmcnt(0)
	v_xor_b32_e32 v1, v1, v9
	v_and_b32_e32 v1, 7, v1
	ds_write_b8 v7, v1 offset:12
.LBB0_65:                               ;   in Loop: Header=BB0_4 Depth=1
	s_or_b64 exec, exec, s[36:37]
	v_mul_lo_u32 v1, v2, s47
	v_add_u32_e32 v9, 0x1984a2e, v1
	s_and_saveexec_b64 s[36:37], vcc
	s_cbranch_execz .LBB0_67
; %bb.66:                               ;   in Loop: Header=BB0_4 Depth=1
	v_mad_u64_u32 v[1:2], s[40:41], v2, s44, 1
	ds_read_u8 v2, v4 offset:13
	v_and_b32_e32 v1, v9, v1
	s_waitcnt lgkmcnt(0)
	v_xor_b32_e32 v1, v2, v1
	v_and_b32_e32 v1, 7, v1
	ds_write_b8 v7, v1 offset:13
.LBB0_67:                               ;   in Loop: Header=BB0_4 Depth=1
	s_or_b64 exec, exec, s[36:37]
	v_mul_lo_u32 v1, v9, s47
	v_add_u32_e32 v1, 0x1984a2e, v1
	s_and_saveexec_b64 s[36:37], vcc
	s_cbranch_execz .LBB0_69
; %bb.68:                               ;   in Loop: Header=BB0_4 Depth=1
	v_mad_u64_u32 v[9:10], s[40:41], v9, s44, 1
	ds_read_u8 v2, v4 offset:14
	v_and_b32_e32 v9, v1, v9
	s_waitcnt lgkmcnt(0)
	v_xor_b32_e32 v2, v2, v9
	v_and_b32_e32 v2, 7, v2
	ds_write_b8 v7, v2 offset:14
.LBB0_69:                               ;   in Loop: Header=BB0_4 Depth=1
	s_or_b64 exec, exec, s[36:37]
	v_mul_lo_u32 v2, v1, s47
	s_mov_b64 s[36:37], 0
                                        ; implicit-def: $vgpr10
	v_add_u32_e32 v2, 0x1984a2e, v2
	s_and_saveexec_b64 s[40:41], vcc
	s_xor_b64 s[40:41], exec, s[40:41]
	s_cbranch_execz .LBB0_71
; %bb.70:                               ;   in Loop: Header=BB0_4 Depth=1
	v_mad_u64_u32 v[9:10], s[42:43], v1, s44, 1
	ds_read_u8 v1, v4 offset:15
	s_mov_b64 s[36:37], exec
	v_and_b32_e32 v4, v2, v9
	s_waitcnt lgkmcnt(0)
	v_xor_b32_e32 v1, v1, v4
	v_and_b32_e32 v10, 7, v1
.LBB0_71:                               ;   in Loop: Header=BB0_4 Depth=1
	s_or_b64 exec, exec, s[40:41]
	v_and_b32_e32 v9, 0x7fffffff, v2
	s_and_b64 s[36:37], s[36:37], exec
                                        ; implicit-def: $vgpr4
                                        ; implicit-def: $vgpr11
                                        ; implicit-def: $vgpr1_vgpr2
	s_andn2_saveexec_b64 s[38:39], s[38:39]
	s_cbranch_execz .LBB0_38
.LBB0_72:                               ;   in Loop: Header=BB0_4 Depth=1
	s_and_saveexec_b64 s[40:41], vcc
	s_cbranch_execz .LBB0_74
; %bb.73:                               ;   in Loop: Header=BB0_4 Depth=1
	ds_read_u8 v2, v7
	ds_read_u8 v9, v4
	v_and_b32_e32 v1, v11, v1
	s_waitcnt lgkmcnt(0)
	v_bfi_b32 v1, v1, v2, v9
	ds_write_b8 v7, v1
.LBB0_74:                               ;   in Loop: Header=BB0_4 Depth=1
	s_or_b64 exec, exec, s[40:41]
	v_mul_lo_u32 v1, v11, s47
	v_add_u32_e32 v1, 0x1984a2e, v1
	s_and_saveexec_b64 s[40:41], vcc
	s_cbranch_execz .LBB0_76
; %bb.75:                               ;   in Loop: Header=BB0_4 Depth=1
	v_mad_u64_u32 v[9:10], s[42:43], v11, s44, 1
	ds_read_u8 v2, v7 offset:1
	ds_read_u8 v10, v4 offset:1
	v_and_b32_e32 v9, v1, v9
	s_waitcnt lgkmcnt(0)
	v_bfi_b32 v2, v9, v2, v10
	ds_write_b8 v7, v2 offset:1
.LBB0_76:                               ;   in Loop: Header=BB0_4 Depth=1
	s_or_b64 exec, exec, s[40:41]
	v_mul_lo_u32 v2, v1, s47
	v_add_u32_e32 v2, 0x1984a2e, v2
	s_and_saveexec_b64 s[40:41], vcc
	s_cbranch_execz .LBB0_78
; %bb.77:                               ;   in Loop: Header=BB0_4 Depth=1
	v_mad_u64_u32 v[9:10], s[42:43], v1, s44, 1
	ds_read_u8 v1, v7 offset:2
	ds_read_u8 v10, v4 offset:2
	v_and_b32_e32 v9, v2, v9
	s_waitcnt lgkmcnt(0)
	v_bfi_b32 v1, v9, v1, v10
	ds_write_b8 v7, v1 offset:2
.LBB0_78:                               ;   in Loop: Header=BB0_4 Depth=1
	;; [unrolled: 14-line block ×12, first 2 shown]
	s_or_b64 exec, exec, s[40:41]
	v_mul_lo_u32 v1, v2, s47
	v_add_u32_e32 v9, 0x1984a2e, v1
	s_and_saveexec_b64 s[40:41], vcc
	s_cbranch_execz .LBB0_100
; %bb.99:                               ;   in Loop: Header=BB0_4 Depth=1
	v_mad_u64_u32 v[1:2], s[42:43], v2, s44, 1
	ds_read_u8 v2, v7 offset:13
	ds_read_u8 v10, v4 offset:13
	v_and_b32_e32 v1, v9, v1
	s_waitcnt lgkmcnt(0)
	v_bfi_b32 v1, v1, v2, v10
	ds_write_b8 v7, v1 offset:13
.LBB0_100:                              ;   in Loop: Header=BB0_4 Depth=1
	s_or_b64 exec, exec, s[40:41]
	v_mul_lo_u32 v1, v9, s47
	v_add_u32_e32 v1, 0x1984a2e, v1
	s_and_saveexec_b64 s[40:41], vcc
	s_cbranch_execz .LBB0_102
; %bb.101:                              ;   in Loop: Header=BB0_4 Depth=1
	v_mad_u64_u32 v[9:10], s[42:43], v9, s44, 1
	ds_read_u8 v2, v7 offset:14
	ds_read_u8 v10, v4 offset:14
	v_and_b32_e32 v9, v1, v9
	s_waitcnt lgkmcnt(0)
	v_bfi_b32 v2, v9, v2, v10
	ds_write_b8 v7, v2 offset:14
.LBB0_102:                              ;   in Loop: Header=BB0_4 Depth=1
	s_or_b64 exec, exec, s[40:41]
	v_mul_lo_u32 v2, v1, s47
	s_mov_b64 s[42:43], s[36:37]
                                        ; implicit-def: $vgpr10
	v_add_u32_e32 v2, 0x1984a2e, v2
	v_and_b32_e32 v9, 0x7fffffff, v2
	s_and_saveexec_b64 s[40:41], vcc
	s_cbranch_execz .LBB0_104
; %bb.103:                              ;   in Loop: Header=BB0_4 Depth=1
	ds_read_u8 v10, v7 offset:15
	ds_read_u8 v4, v4 offset:15
	v_mad_u64_u32 v[1:2], s[42:43], v1, s44, 1
	s_or_b64 s[42:43], s[36:37], exec
	v_and_b32_e32 v1, v9, v1
	s_waitcnt lgkmcnt(0)
	v_xor_b32_e32 v2, v10, v4
	v_and_b32_e32 v1, v2, v1
	v_xor_b32_e32 v1, v1, v4
	v_and_b32_e32 v10, 0xff, v1
.LBB0_104:                              ;   in Loop: Header=BB0_4 Depth=1
	s_or_b64 exec, exec, s[40:41]
	s_andn2_b64 s[36:37], s[36:37], exec
	s_and_b64 s[40:41], s[42:43], exec
	s_or_b64 s[36:37], s[36:37], s[40:41]
	s_or_b64 exec, exec, s[38:39]
	s_and_saveexec_b64 s[38:39], s[36:37]
	s_cbranch_execz .LBB0_3
.LBB0_105:                              ;   in Loop: Header=BB0_4 Depth=1
	ds_write_b8 v7, v10 offset:15
	s_branch .LBB0_3
.LBB0_106:
	s_and_saveexec_b64 s[4:5], s[14:15]
	s_cbranch_execz .LBB0_112
; %bb.107:
	s_bfe_i64 s[4:5], s[6:7], 0x200000
	v_mov_b32_e32 v1, s5
	v_add_co_u32_e64 v0, vcc, 0, s4
	s_mov_b64 s[8:9], exec
	v_addc_co_u32_e32 v1, vcc, v3, v1, vcc
	s_mov_b64 s[4:5], 0
.LBB0_108:                              ; =>This Inner Loop Header: Depth=1
	s_ff1_i32_b64 s7, s[8:9]
	v_readlane_b32 s12, v1, s7
	v_readlane_b32 s13, v0, s7
	v_mov_b32_e32 v2, s13
	v_mov_b32_e32 v3, s12
	v_cmp_gt_u64_e32 vcc, s[4:5], v[2:3]
	s_and_b64 s[10:11], vcc, exec
	s_cselect_b32 s5, s5, s12
	s_cselect_b32 s4, s4, s13
	s_lshl_b64 s[10:11], 1, s7
	s_andn2_b64 s[8:9], s[8:9], s[10:11]
	s_cmp_lg_u64 s[8:9], 0
	s_cbranch_scc1 .LBB0_108
; %bb.109:
	v_mbcnt_lo_u32_b32 v0, exec_lo, 0
	v_mbcnt_hi_u32_b32 v0, exec_hi, v0
	v_cmp_eq_u32_e32 vcc, 0, v0
	s_and_saveexec_b64 s[8:9], vcc
	s_xor_b64 s[8:9], exec, s[8:9]
	s_cbranch_execz .LBB0_111
; %bb.110:
	v_mov_b32_e32 v0, s4
	v_mov_b32_e32 v2, 0
	;; [unrolled: 1-line block ×3, first 2 shown]
	global_atomic_umax_x2 v2, v[0:1], s[22:23]
.LBB0_111:
	s_or_b64 exec, exec, s[8:9]
	ds_read_b128 v[0:3], v7
	s_lshl_b32 s4, s6, 4
	s_ashr_i32 s5, s4, 31
	s_add_u32 s4, s26, s4
	s_addc_u32 s5, s27, s5
	v_mov_b32_e32 v4, 0
	s_waitcnt lgkmcnt(0)
	global_store_dwordx4 v4, v[0:3], s[4:5]
.LBB0_112:
	s_endpgm
	.section	.rodata,"a",@progbits
	.p2align	6, 0x0
	.amdhsa_kernel _Z9FSMKerneliPKtPiPjPhS3_S1_S1_S1_
		.amdhsa_group_segment_fixed_size 4096
		.amdhsa_private_segment_fixed_size 32784
		.amdhsa_kernarg_size 328
		.amdhsa_user_sgpr_count 6
		.amdhsa_user_sgpr_private_segment_buffer 1
		.amdhsa_user_sgpr_dispatch_ptr 0
		.amdhsa_user_sgpr_queue_ptr 0
		.amdhsa_user_sgpr_kernarg_segment_ptr 1
		.amdhsa_user_sgpr_dispatch_id 0
		.amdhsa_user_sgpr_flat_scratch_init 0
		.amdhsa_user_sgpr_private_segment_size 0
		.amdhsa_uses_dynamic_stack 0
		.amdhsa_system_sgpr_private_segment_wavefront_offset 1
		.amdhsa_system_sgpr_workgroup_id_x 1
		.amdhsa_system_sgpr_workgroup_id_y 0
		.amdhsa_system_sgpr_workgroup_id_z 0
		.amdhsa_system_sgpr_workgroup_info 0
		.amdhsa_system_vgpr_workitem_id 0
		.amdhsa_next_free_vgpr 29
		.amdhsa_next_free_sgpr 61
		.amdhsa_reserve_vcc 1
		.amdhsa_reserve_flat_scratch 0
		.amdhsa_float_round_mode_32 0
		.amdhsa_float_round_mode_16_64 0
		.amdhsa_float_denorm_mode_32 3
		.amdhsa_float_denorm_mode_16_64 3
		.amdhsa_dx10_clamp 1
		.amdhsa_ieee_mode 1
		.amdhsa_fp16_overflow 0
		.amdhsa_exception_fp_ieee_invalid_op 0
		.amdhsa_exception_fp_denorm_src 0
		.amdhsa_exception_fp_ieee_div_zero 0
		.amdhsa_exception_fp_ieee_overflow 0
		.amdhsa_exception_fp_ieee_underflow 0
		.amdhsa_exception_fp_ieee_inexact 0
		.amdhsa_exception_int_div_zero 0
	.end_amdhsa_kernel
	.text
.Lfunc_end0:
	.size	_Z9FSMKerneliPKtPiPjPhS3_S1_S1_S1_, .Lfunc_end0-_Z9FSMKerneliPKtPiPjPhS3_S1_S1_S1_
                                        ; -- End function
	.set _Z9FSMKerneliPKtPiPjPhS3_S1_S1_S1_.num_vgpr, 23
	.set _Z9FSMKerneliPKtPiPjPhS3_S1_S1_S1_.num_agpr, 0
	.set _Z9FSMKerneliPKtPiPjPhS3_S1_S1_S1_.numbered_sgpr, 48
	.set _Z9FSMKerneliPKtPiPjPhS3_S1_S1_S1_.num_named_barrier, 0
	.set _Z9FSMKerneliPKtPiPjPhS3_S1_S1_S1_.private_seg_size, 32784
	.set _Z9FSMKerneliPKtPiPjPhS3_S1_S1_S1_.uses_vcc, 1
	.set _Z9FSMKerneliPKtPiPjPhS3_S1_S1_S1_.uses_flat_scratch, 0
	.set _Z9FSMKerneliPKtPiPjPhS3_S1_S1_S1_.has_dyn_sized_stack, 0
	.set _Z9FSMKerneliPKtPiPjPhS3_S1_S1_S1_.has_recursion, 0
	.set _Z9FSMKerneliPKtPiPjPhS3_S1_S1_S1_.has_indirect_call, 0
	.section	.AMDGPU.csdata,"",@progbits
; Kernel info:
; codeLenInByte = 4988
; TotalNumSgprs: 52
; NumVgprs: 23
; ScratchSize: 32784
; MemoryBound: 0
; FloatMode: 240
; IeeeMode: 1
; LDSByteSize: 4096 bytes/workgroup (compile time only)
; SGPRBlocks: 8
; VGPRBlocks: 7
; NumSGPRsForWavesPerEU: 65
; NumVGPRsForWavesPerEU: 29
; Occupancy: 8
; WaveLimiterHint : 0
; COMPUTE_PGM_RSRC2:SCRATCH_EN: 1
; COMPUTE_PGM_RSRC2:USER_SGPR: 6
; COMPUTE_PGM_RSRC2:TRAP_HANDLER: 0
; COMPUTE_PGM_RSRC2:TGID_X_EN: 1
; COMPUTE_PGM_RSRC2:TGID_Y_EN: 0
; COMPUTE_PGM_RSRC2:TGID_Z_EN: 0
; COMPUTE_PGM_RSRC2:TIDIG_COMP_CNT: 0
	.text
	.protected	_Z9MaxKernelPiPKh       ; -- Begin function _Z9MaxKernelPiPKh
	.globl	_Z9MaxKernelPiPKh
	.p2align	8
	.type	_Z9MaxKernelPiPKh,@function
_Z9MaxKernelPiPKh:                      ; @_Z9MaxKernelPiPKh
; %bb.0:
	s_load_dwordx4 s[0:3], s[4:5], 0x0
	v_mov_b32_e32 v20, 0
	s_waitcnt lgkmcnt(0)
	s_load_dword s4, s[0:1], 0x0
	s_waitcnt lgkmcnt(0)
	s_lshl_b32 s4, s4, 4
	s_ashr_i32 s5, s4, 31
	s_add_u32 s2, s2, s4
	s_addc_u32 s3, s3, s5
	global_load_dwordx4 v[0:3], v20, s[2:3]
	s_waitcnt vmcnt(0)
	v_lshrrev_b32_e32 v7, 24, v0
	v_and_b32_e32 v4, 0xff, v0
	v_bfe_u32 v6, v0, 16, 8
	v_bfe_u32 v5, v0, 8, 8
	v_lshrrev_b32_e32 v11, 24, v1
	v_and_b32_e32 v8, 0xff, v1
	v_bfe_u32 v10, v1, 16, 8
	v_bfe_u32 v9, v1, 8, 8
	;; [unrolled: 4-line block ×4, first 2 shown]
	global_store_dwordx4 v20, v[4:7], s[0:1] offset:12
	global_store_dwordx4 v20, v[8:11], s[0:1] offset:28
	;; [unrolled: 1-line block ×4, first 2 shown]
	s_endpgm
	.section	.rodata,"a",@progbits
	.p2align	6, 0x0
	.amdhsa_kernel _Z9MaxKernelPiPKh
		.amdhsa_group_segment_fixed_size 0
		.amdhsa_private_segment_fixed_size 0
		.amdhsa_kernarg_size 16
		.amdhsa_user_sgpr_count 6
		.amdhsa_user_sgpr_private_segment_buffer 1
		.amdhsa_user_sgpr_dispatch_ptr 0
		.amdhsa_user_sgpr_queue_ptr 0
		.amdhsa_user_sgpr_kernarg_segment_ptr 1
		.amdhsa_user_sgpr_dispatch_id 0
		.amdhsa_user_sgpr_flat_scratch_init 0
		.amdhsa_user_sgpr_private_segment_size 0
		.amdhsa_uses_dynamic_stack 0
		.amdhsa_system_sgpr_private_segment_wavefront_offset 0
		.amdhsa_system_sgpr_workgroup_id_x 1
		.amdhsa_system_sgpr_workgroup_id_y 0
		.amdhsa_system_sgpr_workgroup_id_z 0
		.amdhsa_system_sgpr_workgroup_info 0
		.amdhsa_system_vgpr_workitem_id 0
		.amdhsa_next_free_vgpr 21
		.amdhsa_next_free_sgpr 6
		.amdhsa_reserve_vcc 0
		.amdhsa_reserve_flat_scratch 0
		.amdhsa_float_round_mode_32 0
		.amdhsa_float_round_mode_16_64 0
		.amdhsa_float_denorm_mode_32 3
		.amdhsa_float_denorm_mode_16_64 3
		.amdhsa_dx10_clamp 1
		.amdhsa_ieee_mode 1
		.amdhsa_fp16_overflow 0
		.amdhsa_exception_fp_ieee_invalid_op 0
		.amdhsa_exception_fp_denorm_src 0
		.amdhsa_exception_fp_ieee_div_zero 0
		.amdhsa_exception_fp_ieee_overflow 0
		.amdhsa_exception_fp_ieee_underflow 0
		.amdhsa_exception_fp_ieee_inexact 0
		.amdhsa_exception_int_div_zero 0
	.end_amdhsa_kernel
	.text
.Lfunc_end1:
	.size	_Z9MaxKernelPiPKh, .Lfunc_end1-_Z9MaxKernelPiPKh
                                        ; -- End function
	.set _Z9MaxKernelPiPKh.num_vgpr, 21
	.set _Z9MaxKernelPiPKh.num_agpr, 0
	.set _Z9MaxKernelPiPKh.numbered_sgpr, 6
	.set _Z9MaxKernelPiPKh.num_named_barrier, 0
	.set _Z9MaxKernelPiPKh.private_seg_size, 0
	.set _Z9MaxKernelPiPKh.uses_vcc, 0
	.set _Z9MaxKernelPiPKh.uses_flat_scratch, 0
	.set _Z9MaxKernelPiPKh.has_dyn_sized_stack, 0
	.set _Z9MaxKernelPiPKh.has_recursion, 0
	.set _Z9MaxKernelPiPKh.has_indirect_call, 0
	.section	.AMDGPU.csdata,"",@progbits
; Kernel info:
; codeLenInByte = 204
; TotalNumSgprs: 10
; NumVgprs: 21
; ScratchSize: 0
; MemoryBound: 0
; FloatMode: 240
; IeeeMode: 1
; LDSByteSize: 0 bytes/workgroup (compile time only)
; SGPRBlocks: 1
; VGPRBlocks: 5
; NumSGPRsForWavesPerEU: 10
; NumVGPRsForWavesPerEU: 21
; Occupancy: 10
; WaveLimiterHint : 1
; COMPUTE_PGM_RSRC2:SCRATCH_EN: 0
; COMPUTE_PGM_RSRC2:USER_SGPR: 6
; COMPUTE_PGM_RSRC2:TRAP_HANDLER: 0
; COMPUTE_PGM_RSRC2:TGID_X_EN: 1
; COMPUTE_PGM_RSRC2:TGID_Y_EN: 0
; COMPUTE_PGM_RSRC2:TGID_Z_EN: 0
; COMPUTE_PGM_RSRC2:TIDIG_COMP_CNT: 0
	.section	.AMDGPU.gpr_maximums,"",@progbits
	.set amdgpu.max_num_vgpr, 0
	.set amdgpu.max_num_agpr, 0
	.set amdgpu.max_num_sgpr, 0
	.section	.AMDGPU.csdata,"",@progbits
	.type	__hip_cuid_e59a1558bd48913f,@object ; @__hip_cuid_e59a1558bd48913f
	.section	.bss,"aw",@nobits
	.globl	__hip_cuid_e59a1558bd48913f
__hip_cuid_e59a1558bd48913f:
	.byte	0                               ; 0x0
	.size	__hip_cuid_e59a1558bd48913f, 1

	.ident	"AMD clang version 22.0.0git (https://github.com/RadeonOpenCompute/llvm-project roc-7.2.4 26084 f58b06dce1f9c15707c5f808fd002e18c2accf7e)"
	.section	".note.GNU-stack","",@progbits
	.addrsig
	.addrsig_sym __hip_cuid_e59a1558bd48913f
	.amdgpu_metadata
---
amdhsa.kernels:
  - .args:
      - .offset:         0
        .size:           4
        .value_kind:     by_value
      - .actual_access:  read_only
        .address_space:  global
        .offset:         8
        .size:           8
        .value_kind:     global_buffer
      - .address_space:  global
        .offset:         16
        .size:           8
        .value_kind:     global_buffer
      - .address_space:  global
        .offset:         24
        .size:           8
        .value_kind:     global_buffer
      - .actual_access:  write_only
        .address_space:  global
        .offset:         32
        .size:           8
        .value_kind:     global_buffer
      - .address_space:  global
        .offset:         40
        .size:           8
        .value_kind:     global_buffer
      - .address_space:  global
        .offset:         48
        .size:           8
        .value_kind:     global_buffer
      - .address_space:  global
        .offset:         56
        .size:           8
        .value_kind:     global_buffer
      - .address_space:  global
        .offset:         64
        .size:           8
        .value_kind:     global_buffer
      - .offset:         72
        .size:           4
        .value_kind:     hidden_block_count_x
      - .offset:         76
        .size:           4
        .value_kind:     hidden_block_count_y
      - .offset:         80
        .size:           4
        .value_kind:     hidden_block_count_z
      - .offset:         84
        .size:           2
        .value_kind:     hidden_group_size_x
      - .offset:         86
        .size:           2
        .value_kind:     hidden_group_size_y
      - .offset:         88
        .size:           2
        .value_kind:     hidden_group_size_z
      - .offset:         90
        .size:           2
        .value_kind:     hidden_remainder_x
      - .offset:         92
        .size:           2
        .value_kind:     hidden_remainder_y
      - .offset:         94
        .size:           2
        .value_kind:     hidden_remainder_z
      - .offset:         112
        .size:           8
        .value_kind:     hidden_global_offset_x
      - .offset:         120
        .size:           8
        .value_kind:     hidden_global_offset_y
      - .offset:         128
        .size:           8
        .value_kind:     hidden_global_offset_z
      - .offset:         136
        .size:           2
        .value_kind:     hidden_grid_dims
    .group_segment_fixed_size: 4096
    .kernarg_segment_align: 8
    .kernarg_segment_size: 328
    .language:       OpenCL C
    .language_version:
      - 2
      - 0
    .max_flat_workgroup_size: 1024
    .name:           _Z9FSMKerneliPKtPiPjPhS3_S1_S1_S1_
    .private_segment_fixed_size: 32784
    .sgpr_count:     52
    .sgpr_spill_count: 0
    .symbol:         _Z9FSMKerneliPKtPiPjPhS3_S1_S1_S1_.kd
    .uniform_work_group_size: 1
    .uses_dynamic_stack: false
    .vgpr_count:     23
    .vgpr_spill_count: 0
    .wavefront_size: 64
  - .args:
      - .address_space:  global
        .offset:         0
        .size:           8
        .value_kind:     global_buffer
      - .actual_access:  read_only
        .address_space:  global
        .offset:         8
        .size:           8
        .value_kind:     global_buffer
    .group_segment_fixed_size: 0
    .kernarg_segment_align: 8
    .kernarg_segment_size: 16
    .language:       OpenCL C
    .language_version:
      - 2
      - 0
    .max_flat_workgroup_size: 1024
    .name:           _Z9MaxKernelPiPKh
    .private_segment_fixed_size: 0
    .sgpr_count:     10
    .sgpr_spill_count: 0
    .symbol:         _Z9MaxKernelPiPKh.kd
    .uniform_work_group_size: 1
    .uses_dynamic_stack: false
    .vgpr_count:     21
    .vgpr_spill_count: 0
    .wavefront_size: 64
amdhsa.target:   amdgcn-amd-amdhsa--gfx906
amdhsa.version:
  - 1
  - 2
...

	.end_amdgpu_metadata
